;; amdgpu-corpus repo=ROCm/rocFFT kind=compiled arch=gfx906 opt=O3
	.text
	.amdgcn_target "amdgcn-amd-amdhsa--gfx906"
	.amdhsa_code_object_version 6
	.protected	fft_rtc_fwd_len100_factors_10_2_5_wgs_120_tpt_10_halfLds_dim3_dp_op_CI_CI_sbcc_twdbase5_3step_dirReg ; -- Begin function fft_rtc_fwd_len100_factors_10_2_5_wgs_120_tpt_10_halfLds_dim3_dp_op_CI_CI_sbcc_twdbase5_3step_dirReg
	.globl	fft_rtc_fwd_len100_factors_10_2_5_wgs_120_tpt_10_halfLds_dim3_dp_op_CI_CI_sbcc_twdbase5_3step_dirReg
	.p2align	8
	.type	fft_rtc_fwd_len100_factors_10_2_5_wgs_120_tpt_10_halfLds_dim3_dp_op_CI_CI_sbcc_twdbase5_3step_dirReg,@function
fft_rtc_fwd_len100_factors_10_2_5_wgs_120_tpt_10_halfLds_dim3_dp_op_CI_CI_sbcc_twdbase5_3step_dirReg: ; @fft_rtc_fwd_len100_factors_10_2_5_wgs_120_tpt_10_halfLds_dim3_dp_op_CI_CI_sbcc_twdbase5_3step_dirReg
; %bb.0:
	s_load_dwordx4 s[0:3], s[4:5], 0x10
	s_movk_i32 s7, 0x60
	v_cmp_gt_u32_e32 vcc, s7, v0
	s_and_saveexec_b64 s[8:9], vcc
	s_cbranch_execz .LBB0_2
; %bb.1:
	s_load_dwordx2 s[10:11], s[4:5], 0x8
	v_lshlrev_b32_e32 v5, 4, v0
	s_waitcnt lgkmcnt(0)
	global_load_dwordx4 v[1:4], v5, s[10:11]
	v_add_u32_e32 v5, 0, v5
	v_add_u32_e32 v5, 0x2580, v5
	s_waitcnt vmcnt(0)
	ds_write2_b64 v5, v[1:2], v[3:4] offset1:1
.LBB0_2:
	s_or_b64 exec, exec, s[8:9]
	s_waitcnt lgkmcnt(0)
	s_load_dwordx2 s[28:29], s[0:1], 0x8
	s_mov_b32 s7, 0
	s_mov_b64 s[34:35], 0
	s_waitcnt lgkmcnt(0)
	s_add_u32 s8, s28, -1
	s_addc_u32 s9, s29, -1
	s_add_u32 s10, 0, 0x55540000
	s_addc_u32 s11, 0, 0x55
	s_mul_hi_u32 s13, s10, -12
	s_add_i32 s11, s11, 0x15555500
	s_sub_i32 s13, s13, s10
	s_mul_i32 s16, s11, -12
	s_mul_i32 s12, s10, -12
	s_add_i32 s13, s13, s16
	s_mul_hi_u32 s14, s11, s12
	s_mul_i32 s15, s11, s12
	s_mul_i32 s17, s10, s13
	s_mul_hi_u32 s12, s10, s12
	s_mul_hi_u32 s16, s10, s13
	s_add_u32 s12, s12, s17
	s_addc_u32 s16, 0, s16
	s_add_u32 s12, s12, s15
	s_mul_hi_u32 s17, s11, s13
	s_addc_u32 s12, s16, s14
	s_addc_u32 s14, s17, 0
	s_mul_i32 s13, s11, s13
	s_add_u32 s12, s12, s13
	v_mov_b32_e32 v1, s12
	s_addc_u32 s13, 0, s14
	v_add_co_u32_e32 v1, vcc, s10, v1
	s_cmp_lg_u64 vcc, 0
	s_addc_u32 s10, s11, s13
	v_readfirstlane_b32 s13, v1
	s_mul_i32 s12, s8, s10
	s_mul_hi_u32 s14, s8, s13
	s_mul_hi_u32 s11, s8, s10
	s_add_u32 s12, s14, s12
	s_addc_u32 s11, 0, s11
	s_mul_hi_u32 s15, s9, s13
	s_mul_i32 s13, s9, s13
	s_add_u32 s12, s12, s13
	s_mul_hi_u32 s14, s9, s10
	s_addc_u32 s11, s11, s15
	s_addc_u32 s12, s14, 0
	s_mul_i32 s10, s9, s10
	s_add_u32 s10, s11, s10
	s_addc_u32 s11, 0, s12
	s_add_u32 s12, s10, 1
	s_addc_u32 s13, s11, 0
	s_add_u32 s14, s10, 2
	s_mul_i32 s16, s11, 12
	s_mul_hi_u32 s17, s10, 12
	s_addc_u32 s15, s11, 0
	s_add_i32 s17, s17, s16
	s_mul_i32 s16, s10, 12
	v_mov_b32_e32 v1, s16
	v_sub_co_u32_e32 v1, vcc, s8, v1
	s_cmp_lg_u64 vcc, 0
	s_subb_u32 s8, s9, s17
	v_subrev_co_u32_e32 v2, vcc, 12, v1
	s_cmp_lg_u64 vcc, 0
	s_subb_u32 s9, s8, 0
	v_readfirstlane_b32 s16, v2
	s_cmp_gt_u32 s16, 11
	s_cselect_b32 s16, -1, 0
	s_cmp_eq_u32 s9, 0
	s_cselect_b32 s9, s16, -1
	s_cmp_lg_u32 s9, 0
	s_cselect_b32 s9, s14, s12
	s_cselect_b32 s12, s15, s13
	v_readfirstlane_b32 s13, v1
	s_cmp_gt_u32 s13, 11
	s_cselect_b32 s13, -1, 0
	s_cmp_eq_u32 s8, 0
	s_cselect_b32 s8, s13, -1
	s_cmp_lg_u32 s8, 0
	s_cselect_b32 s9, s9, s10
	s_cselect_b32 s8, s12, s11
	s_add_u32 s30, s9, 1
	s_addc_u32 s31, s8, 0
	v_mov_b32_e32 v1, s30
	v_mov_b32_e32 v2, s31
	v_cmp_lt_u64_e32 vcc, s[6:7], v[1:2]
	s_cbranch_vccnz .LBB0_4
; %bb.3:
	v_cvt_f32_u32_e32 v1, s30
	s_sub_i32 s8, 0, s30
	s_mov_b32 s35, s7
	v_rcp_iflag_f32_e32 v1, v1
	v_mul_f32_e32 v1, 0x4f7ffffe, v1
	v_cvt_u32_f32_e32 v1, v1
	v_readfirstlane_b32 s9, v1
	s_mul_i32 s8, s8, s9
	s_mul_hi_u32 s8, s9, s8
	s_add_i32 s9, s9, s8
	s_mul_hi_u32 s8, s6, s9
	s_mul_i32 s10, s8, s30
	s_sub_i32 s10, s6, s10
	s_add_i32 s9, s8, 1
	s_sub_i32 s11, s10, s30
	s_cmp_ge_u32 s10, s30
	s_cselect_b32 s8, s9, s8
	s_cselect_b32 s10, s11, s10
	s_add_i32 s9, s8, 1
	s_cmp_ge_u32 s10, s30
	s_cselect_b32 s34, s9, s8
.LBB0_4:
	s_load_dwordx2 s[8:9], s[0:1], 0x10
	s_load_dwordx2 s[36:37], s[4:5], 0x20
	;; [unrolled: 1-line block ×3, first 2 shown]
	s_mov_b64 s[16:17], s[34:35]
	s_waitcnt lgkmcnt(0)
	v_mov_b32_e32 v1, s8
	v_mov_b32_e32 v2, s9
	v_cmp_lt_u64_e32 vcc, s[34:35], v[1:2]
	s_cbranch_vccnz .LBB0_6
; %bb.5:
	v_cvt_f32_u32_e32 v1, s8
	s_sub_i32 s0, 0, s8
	v_rcp_iflag_f32_e32 v1, v1
	v_mul_f32_e32 v1, 0x4f7ffffe, v1
	v_cvt_u32_f32_e32 v1, v1
	v_readfirstlane_b32 s1, v1
	s_mul_i32 s0, s0, s1
	s_mul_hi_u32 s0, s1, s0
	s_add_i32 s1, s1, s0
	s_mul_hi_u32 s0, s34, s1
	s_mul_i32 s0, s0, s8
	s_sub_i32 s0, s34, s0
	s_sub_i32 s1, s0, s8
	s_cmp_ge_u32 s0, s8
	s_cselect_b32 s0, s1, s0
	s_sub_i32 s1, s0, s8
	s_cmp_ge_u32 s0, s8
	s_cselect_b32 s16, s1, s0
.LBB0_6:
	s_mul_i32 s0, s8, s31
	s_mul_hi_u32 s1, s8, s30
	s_add_i32 s0, s1, s0
	s_mul_i32 s1, s9, s30
	s_mul_i32 s8, s8, s30
	s_load_dwordx2 s[26:27], s[4:5], 0x58
	s_add_i32 s9, s0, s1
	s_load_dwordx2 s[22:23], s[2:3], 0x0
	s_load_dwordx2 s[0:1], s[2:3], 0x10
	v_mov_b32_e32 v1, s8
	v_mov_b32_e32 v2, s9
	v_cmp_lt_u64_e32 vcc, s[6:7], v[1:2]
	s_mov_b64 s[18:19], 0
	s_cbranch_vccnz .LBB0_8
; %bb.7:
	v_cvt_f32_u32_e32 v1, s8
	s_sub_i32 s7, 0, s8
	v_rcp_iflag_f32_e32 v1, v1
	v_mul_f32_e32 v1, 0x4f7ffffe, v1
	v_cvt_u32_f32_e32 v1, v1
	v_readfirstlane_b32 s9, v1
	s_mul_i32 s7, s7, s9
	s_mul_hi_u32 s7, s9, s7
	s_add_i32 s9, s9, s7
	s_mul_hi_u32 s7, s6, s9
	s_mul_i32 s10, s7, s8
	s_sub_i32 s10, s6, s10
	s_add_i32 s9, s7, 1
	s_sub_i32 s11, s10, s8
	s_cmp_ge_u32 s10, s8
	s_cselect_b32 s7, s9, s7
	s_cselect_b32 s10, s11, s10
	s_add_i32 s9, s7, 1
	s_cmp_ge_u32 s10, s8
	s_cselect_b32 s18, s9, s7
.LBB0_8:
	s_mul_i32 s7, s34, s31
	s_mul_hi_u32 s17, s34, s30
	s_add_i32 s17, s17, s7
	s_mul_i32 s7, s34, s30
	s_sub_u32 s6, s6, s7
	s_subb_u32 s7, 0, s17
	s_mul_i32 s7, s7, 12
	s_mul_hi_u32 s17, s6, 12
	s_load_dwordx2 s[20:21], s[4:5], 0x0
	s_load_dwordx8 s[8:15], s[36:37], 0x0
	s_add_i32 s19, s17, s7
	s_mul_i32 s17, s6, 12
	s_load_dwordx2 s[2:3], s[2:3], 0x18
	s_mul_i32 s6, s24, s19
	s_mul_hi_u32 s7, s24, s17
	s_add_i32 s6, s7, s6
	s_mul_i32 s7, s25, s17
	s_waitcnt lgkmcnt(0)
	s_mul_i32 s1, s1, s16
	s_mul_hi_u32 s30, s0, s16
	s_add_i32 s6, s6, s7
	s_mul_i32 s7, s24, s17
	s_add_i32 s30, s30, s1
	s_mul_i32 s0, s0, s16
	s_add_u32 s0, s0, s7
	v_mul_u32_u24_e32 v1, 0x1556, v0
	s_addc_u32 s1, s30, s6
	s_mul_i32 s3, s3, s18
	s_mul_hi_u32 s6, s2, s18
	v_lshrrev_b32_e32 v43, 16, v1
	s_add_i32 s6, s6, s3
	s_mul_i32 s2, s2, s18
	v_mul_lo_u16_e32 v1, 12, v43
	s_add_u32 s2, s2, s0
	v_sub_u16_e32 v85, v0, v1
	s_addc_u32 s3, s6, s1
	v_mov_b32_e32 v1, s19
	v_add_co_u32_e32 v41, vcc, s17, v85
	v_addc_co_u32_e32 v42, vcc, 0, v1, vcc
	s_add_u32 s0, s17, 12
	v_mov_b32_e32 v1, s28
	s_addc_u32 s1, s19, 0
	v_mov_b32_e32 v2, s29
	v_cmp_gt_u64_e32 vcc, s[0:1], v[1:2]
	v_cmp_le_u64_e64 s[0:1], s[0:1], v[1:2]
	s_cbranch_vccz .LBB0_14
; %bb.9:
	v_cmp_le_u64_e32 vcc, s[28:29], v[41:42]
                                        ; implicit-def: $vgpr84
                                        ; implicit-def: $vgpr44
                                        ; implicit-def: $vgpr45
                                        ; implicit-def: $vgpr46
	s_and_saveexec_b64 s[6:7], vcc
	s_xor_b64 s[6:7], exec, s[6:7]
; %bb.10:
	v_add_u32_e32 v84, 10, v43
	v_add_u32_e32 v44, 20, v43
	;; [unrolled: 1-line block ×4, first 2 shown]
; %bb.11:
	s_or_saveexec_b64 s[6:7], s[6:7]
                                        ; implicit-def: $vgpr9_vgpr10
                                        ; implicit-def: $vgpr1_vgpr2
                                        ; implicit-def: $vgpr17_vgpr18
                                        ; implicit-def: $vgpr5_vgpr6
                                        ; implicit-def: $vgpr29_vgpr30
                                        ; implicit-def: $vgpr13_vgpr14
                                        ; implicit-def: $vgpr33_vgpr34
                                        ; implicit-def: $vgpr25_vgpr26
                                        ; implicit-def: $vgpr37_vgpr38
                                        ; implicit-def: $vgpr21_vgpr22
	s_xor_b64 exec, exec, s[6:7]
	s_cbranch_execz .LBB0_13
; %bb.12:
	v_mad_u64_u32 v[1:2], s[30:31], s24, v85, 0
	v_mad_u64_u32 v[3:4], s[30:31], s22, v43, 0
	v_add_u32_e32 v84, 10, v43
	v_add_u32_e32 v44, 20, v43
	v_mad_u64_u32 v[5:6], s[30:31], s25, v85, v[2:3]
	v_mov_b32_e32 v2, v4
	v_mad_u64_u32 v[6:7], s[30:31], s23, v43, v[2:3]
	s_lshl_b64 s[30:31], s[2:3], 4
	s_add_u32 s33, s26, s30
	s_addc_u32 s30, s27, s31
	v_mov_b32_e32 v2, v5
	v_mov_b32_e32 v4, v6
	;; [unrolled: 1-line block ×3, first 2 shown]
	v_mad_u64_u32 v[5:6], s[30:31], s22, v84, 0
	v_lshlrev_b64 v[1:2], 4, v[1:2]
	v_add_u32_e32 v45, 30, v43
	v_add_co_u32_e32 v49, vcc, s33, v1
	v_addc_co_u32_e32 v50, vcc, v7, v2, vcc
	v_lshlrev_b64 v[1:2], 4, v[3:4]
	v_mov_b32_e32 v3, v6
	v_mad_u64_u32 v[3:4], s[30:31], s23, v84, v[3:4]
	v_add_co_u32_e32 v7, vcc, v49, v1
	v_mov_b32_e32 v6, v3
	v_addc_co_u32_e32 v8, vcc, v50, v2, vcc
	v_lshlrev_b64 v[1:2], 4, v[5:6]
	v_mad_u64_u32 v[5:6], s[30:31], s22, v44, 0
	v_add_co_u32_e32 v13, vcc, v49, v1
	v_mov_b32_e32 v1, v6
	v_mad_u64_u32 v[15:16], s[30:31], s23, v44, v[1:2]
	v_mad_u64_u32 v[16:17], s[30:31], s22, v45, 0
	v_addc_co_u32_e32 v14, vcc, v50, v2, vcc
	global_load_dwordx4 v[9:12], v[7:8], off
	global_load_dwordx4 v[1:4], v[13:14], off
	v_mov_b32_e32 v7, v17
	v_mad_u64_u32 v[7:8], s[30:31], s23, v45, v[7:8]
	v_mov_b32_e32 v6, v15
	v_lshlrev_b64 v[5:6], 4, v[5:6]
	v_mov_b32_e32 v17, v7
	v_add_co_u32_e32 v13, vcc, v49, v5
	v_add_u32_e32 v46, 40, v43
	v_addc_co_u32_e32 v14, vcc, v50, v6, vcc
	v_lshlrev_b64 v[5:6], 4, v[16:17]
	v_mad_u64_u32 v[15:16], s[30:31], s22, v46, 0
	v_add_co_u32_e32 v21, vcc, v49, v5
	v_mov_b32_e32 v5, v16
	v_add_u32_e32 v25, 50, v43
	v_mad_u64_u32 v[16:17], s[30:31], s23, v46, v[5:6]
	v_mad_u64_u32 v[23:24], s[30:31], s22, v25, 0
	v_addc_co_u32_e32 v22, vcc, v50, v6, vcc
	global_load_dwordx4 v[17:20], v[13:14], off
	global_load_dwordx4 v[5:8], v[21:22], off
	v_lshlrev_b64 v[13:14], 4, v[15:16]
	v_mov_b32_e32 v15, v24
	v_mad_u64_u32 v[15:16], s[30:31], s23, v25, v[15:16]
	v_add_co_u32_e32 v21, vcc, v49, v13
	v_mov_b32_e32 v24, v15
	v_add_u32_e32 v15, 60, v43
	v_addc_co_u32_e32 v22, vcc, v50, v14, vcc
	v_lshlrev_b64 v[13:14], 4, v[23:24]
	v_mad_u64_u32 v[23:24], s[30:31], s22, v15, 0
	v_add_co_u32_e32 v25, vcc, v49, v13
	v_mov_b32_e32 v13, v24
	v_mad_u64_u32 v[27:28], s[30:31], s23, v15, v[13:14]
	v_add_u32_e32 v28, 0x46, v43
	v_mad_u64_u32 v[33:34], s[30:31], s22, v28, 0
	v_addc_co_u32_e32 v26, vcc, v50, v14, vcc
	global_load_dwordx4 v[29:32], v[21:22], off
	global_load_dwordx4 v[13:16], v[25:26], off
	v_or_b32_e32 v26, 0x50, v43
	v_mov_b32_e32 v24, v27
	v_mad_u64_u32 v[37:38], s[30:31], s22, v26, 0
	v_lshlrev_b64 v[21:22], 4, v[23:24]
	v_mov_b32_e32 v23, v34
	v_mad_u64_u32 v[23:24], s[30:31], s23, v28, v[23:24]
	v_mov_b32_e32 v25, v38
	v_mad_u64_u32 v[38:39], s[30:31], s23, v26, v[25:26]
	v_add_u32_e32 v47, 0x5a, v43
	v_mov_b32_e32 v34, v23
	v_mad_u64_u32 v[39:40], s[30:31], s22, v47, 0
	v_add_co_u32_e32 v21, vcc, v49, v21
	v_lshlrev_b64 v[23:24], 4, v[33:34]
	v_addc_co_u32_e32 v22, vcc, v50, v22, vcc
	v_add_co_u32_e32 v23, vcc, v49, v23
	v_addc_co_u32_e32 v24, vcc, v50, v24, vcc
	global_load_dwordx4 v[33:36], v[21:22], off
	global_load_dwordx4 v[25:28], v[23:24], off
	v_mov_b32_e32 v23, v40
	v_mad_u64_u32 v[23:24], s[30:31], s23, v47, v[23:24]
	v_lshlrev_b64 v[21:22], 4, v[37:38]
	v_add_co_u32_e32 v47, vcc, v49, v21
	v_mov_b32_e32 v40, v23
	v_addc_co_u32_e32 v48, vcc, v50, v22, vcc
	v_lshlrev_b64 v[21:22], 4, v[39:40]
	v_add_co_u32_e32 v49, vcc, v49, v21
	v_addc_co_u32_e32 v50, vcc, v50, v22, vcc
	global_load_dwordx4 v[37:40], v[47:48], off
	global_load_dwordx4 v[21:24], v[49:50], off
.LBB0_13:
	s_or_b64 exec, exec, s[6:7]
	s_cbranch_execz .LBB0_15
	s_branch .LBB0_16
.LBB0_14:
                                        ; implicit-def: $vgpr9_vgpr10
                                        ; implicit-def: $vgpr1_vgpr2
                                        ; implicit-def: $vgpr17_vgpr18
                                        ; implicit-def: $vgpr5_vgpr6
                                        ; implicit-def: $vgpr29_vgpr30
                                        ; implicit-def: $vgpr13_vgpr14
                                        ; implicit-def: $vgpr84
                                        ; implicit-def: $vgpr44
                                        ; implicit-def: $vgpr45
                                        ; implicit-def: $vgpr46
                                        ; implicit-def: $vgpr33_vgpr34
                                        ; implicit-def: $vgpr25_vgpr26
                                        ; implicit-def: $vgpr37_vgpr38
                                        ; implicit-def: $vgpr21_vgpr22
.LBB0_15:
	s_waitcnt vmcnt(8)
	v_mad_u64_u32 v[1:2], s[6:7], s24, v85, 0
	v_mad_u64_u32 v[3:4], s[6:7], s22, v43, 0
	s_lshl_b64 s[2:3], s[2:3], 4
	v_add_u32_e32 v84, 10, v43
	s_waitcnt vmcnt(6)
	v_mad_u64_u32 v[5:6], s[6:7], s25, v85, v[2:3]
	v_mov_b32_e32 v2, v4
	v_mad_u64_u32 v[6:7], s[6:7], s23, v43, v[2:3]
	s_add_u32 s6, s26, s2
	s_addc_u32 s2, s27, s3
	v_mov_b32_e32 v2, v5
	v_mov_b32_e32 v4, v6
	;; [unrolled: 1-line block ×3, first 2 shown]
	v_mad_u64_u32 v[5:6], s[2:3], s22, v84, 0
	v_lshlrev_b64 v[1:2], 4, v[1:2]
	v_add_u32_e32 v44, 20, v43
	v_add_co_u32_e32 v49, vcc, s6, v1
	v_addc_co_u32_e32 v50, vcc, v7, v2, vcc
	v_lshlrev_b64 v[1:2], 4, v[3:4]
	v_mov_b32_e32 v3, v6
	v_mad_u64_u32 v[3:4], s[2:3], s23, v84, v[3:4]
	v_add_co_u32_e32 v7, vcc, v49, v1
	v_mov_b32_e32 v6, v3
	v_addc_co_u32_e32 v8, vcc, v50, v2, vcc
	v_lshlrev_b64 v[1:2], 4, v[5:6]
	v_mad_u64_u32 v[5:6], s[2:3], s22, v44, 0
	s_waitcnt vmcnt(4)
	v_add_co_u32_e32 v13, vcc, v49, v1
	v_mov_b32_e32 v1, v6
	v_mad_u64_u32 v[15:16], s[2:3], s23, v44, v[1:2]
	v_add_u32_e32 v45, 30, v43
	v_mad_u64_u32 v[16:17], s[2:3], s22, v45, 0
	v_addc_co_u32_e32 v14, vcc, v50, v2, vcc
	global_load_dwordx4 v[9:12], v[7:8], off
	global_load_dwordx4 v[1:4], v[13:14], off
	v_mov_b32_e32 v7, v17
	v_mad_u64_u32 v[7:8], s[2:3], s23, v45, v[7:8]
	v_mov_b32_e32 v6, v15
	v_lshlrev_b64 v[5:6], 4, v[5:6]
	v_mov_b32_e32 v17, v7
	v_add_co_u32_e32 v13, vcc, v49, v5
	v_add_u32_e32 v46, 40, v43
	v_addc_co_u32_e32 v14, vcc, v50, v6, vcc
	v_lshlrev_b64 v[5:6], 4, v[16:17]
	v_mad_u64_u32 v[15:16], s[2:3], s22, v46, 0
	s_waitcnt vmcnt(2)
	v_add_co_u32_e32 v21, vcc, v49, v5
	v_mov_b32_e32 v5, v16
	v_add_u32_e32 v25, 50, v43
	v_mad_u64_u32 v[16:17], s[2:3], s23, v46, v[5:6]
	v_mad_u64_u32 v[23:24], s[2:3], s22, v25, 0
	v_addc_co_u32_e32 v22, vcc, v50, v6, vcc
	global_load_dwordx4 v[17:20], v[13:14], off
	global_load_dwordx4 v[5:8], v[21:22], off
	v_lshlrev_b64 v[13:14], 4, v[15:16]
	v_mov_b32_e32 v15, v24
	v_mad_u64_u32 v[15:16], s[2:3], s23, v25, v[15:16]
	v_add_co_u32_e32 v21, vcc, v49, v13
	v_mov_b32_e32 v24, v15
	v_add_u32_e32 v15, 60, v43
	v_addc_co_u32_e32 v22, vcc, v50, v14, vcc
	v_lshlrev_b64 v[13:14], 4, v[23:24]
	v_mad_u64_u32 v[23:24], s[2:3], s22, v15, 0
	v_add_co_u32_e32 v25, vcc, v49, v13
	v_mov_b32_e32 v13, v24
	v_mad_u64_u32 v[27:28], s[2:3], s23, v15, v[13:14]
	v_add_u32_e32 v28, 0x46, v43
	v_mad_u64_u32 v[33:34], s[2:3], s22, v28, 0
	v_addc_co_u32_e32 v26, vcc, v50, v14, vcc
	global_load_dwordx4 v[29:32], v[21:22], off
	global_load_dwordx4 v[13:16], v[25:26], off
	v_or_b32_e32 v26, 0x50, v43
	v_mov_b32_e32 v24, v27
	v_mad_u64_u32 v[37:38], s[2:3], s22, v26, 0
	v_lshlrev_b64 v[21:22], 4, v[23:24]
	v_mov_b32_e32 v23, v34
	v_mad_u64_u32 v[23:24], s[2:3], s23, v28, v[23:24]
	v_mov_b32_e32 v25, v38
	v_mad_u64_u32 v[38:39], s[2:3], s23, v26, v[25:26]
	v_add_u32_e32 v47, 0x5a, v43
	v_mov_b32_e32 v34, v23
	v_mad_u64_u32 v[39:40], s[2:3], s22, v47, 0
	v_add_co_u32_e32 v21, vcc, v49, v21
	v_lshlrev_b64 v[23:24], 4, v[33:34]
	v_addc_co_u32_e32 v22, vcc, v50, v22, vcc
	v_add_co_u32_e32 v23, vcc, v49, v23
	v_addc_co_u32_e32 v24, vcc, v50, v24, vcc
	global_load_dwordx4 v[33:36], v[21:22], off
	global_load_dwordx4 v[25:28], v[23:24], off
	v_mov_b32_e32 v23, v40
	v_mad_u64_u32 v[23:24], s[2:3], s23, v47, v[23:24]
	v_lshlrev_b64 v[21:22], 4, v[37:38]
	v_add_co_u32_e32 v47, vcc, v49, v21
	v_mov_b32_e32 v40, v23
	v_addc_co_u32_e32 v48, vcc, v50, v22, vcc
	v_lshlrev_b64 v[21:22], 4, v[39:40]
	v_add_co_u32_e32 v49, vcc, v49, v21
	v_addc_co_u32_e32 v50, vcc, v50, v22, vcc
	global_load_dwordx4 v[37:40], v[47:48], off
	global_load_dwordx4 v[21:24], v[49:50], off
.LBB0_16:
	s_waitcnt vmcnt(3)
	v_add_f64 v[49:50], v[33:34], v[29:30]
	v_add_f64 v[47:48], v[17:18], v[9:10]
	s_waitcnt vmcnt(1)
	v_add_f64 v[51:52], v[19:20], -v[39:40]
	v_add_f64 v[57:58], v[37:38], v[17:18]
	s_mov_b32 s6, 0x134454ff
	s_mov_b32 s7, 0x3fee6f0e
	v_add_f64 v[53:54], v[31:32], -v[35:36]
	v_add_f64 v[55:56], v[17:18], -v[29:30]
	v_fma_f64 v[49:50], v[49:50], -0.5, v[9:10]
	v_add_f64 v[47:48], v[29:30], v[47:48]
	v_add_f64 v[59:60], v[37:38], -v[33:34]
	v_fma_f64 v[9:10], v[57:58], -0.5, v[9:10]
	s_mov_b32 s22, 0x4755a5e
	s_mov_b32 s23, 0x3fe2cf23
	;; [unrolled: 1-line block ×4, first 2 shown]
	v_fma_f64 v[61:62], v[51:52], s[6:7], v[49:50]
	v_add_f64 v[47:48], v[33:34], v[47:48]
	v_add_f64 v[55:56], v[59:60], v[55:56]
	v_fma_f64 v[49:50], v[51:52], s[26:27], v[49:50]
	v_add_f64 v[59:60], v[19:20], v[11:12]
	v_fma_f64 v[63:64], v[53:54], s[26:27], v[9:10]
	v_add_f64 v[65:66], v[29:30], -v[17:18]
	v_add_f64 v[67:68], v[33:34], -v[37:38]
	v_fma_f64 v[57:58], v[53:54], s[22:23], v[61:62]
	v_add_f64 v[61:62], v[35:36], v[31:32]
	s_mov_b32 s25, 0xbfe2cf23
	s_mov_b32 s24, s22
	v_add_f64 v[47:48], v[37:38], v[47:48]
	v_fma_f64 v[49:50], v[53:54], s[24:25], v[49:50]
	v_fma_f64 v[9:10], v[53:54], s[6:7], v[9:10]
	v_add_f64 v[53:54], v[31:32], v[59:60]
	v_add_f64 v[17:18], v[17:18], -v[37:38]
	v_fma_f64 v[59:60], v[61:62], -0.5, v[11:12]
	v_fma_f64 v[37:38], v[51:52], s[22:23], v[63:64]
	v_add_f64 v[61:62], v[67:68], v[65:66]
	s_mov_b32 s2, 0x372fe950
	s_mov_b32 s3, 0x3fd3c6ef
	v_fma_f64 v[57:58], v[55:56], s[2:3], v[57:58]
	v_fma_f64 v[49:50], v[55:56], s[2:3], v[49:50]
	;; [unrolled: 1-line block ×3, first 2 shown]
	v_add_f64 v[51:52], v[35:36], v[53:54]
	v_add_f64 v[53:54], v[39:40], v[19:20]
	v_fma_f64 v[55:56], v[17:18], s[26:27], v[59:60]
	v_add_f64 v[29:30], v[29:30], -v[33:34]
	v_fma_f64 v[33:34], v[61:62], s[2:3], v[37:38]
	v_add_f64 v[37:38], v[25:26], v[13:14]
	v_add_f64 v[63:64], v[19:20], -v[31:32]
	v_add_f64 v[65:66], v[39:40], -v[35:36]
	v_fma_f64 v[9:10], v[61:62], s[2:3], v[9:10]
	v_fma_f64 v[11:12], v[53:54], -0.5, v[11:12]
	s_waitcnt vmcnt(0)
	v_add_f64 v[61:62], v[7:8], -v[23:24]
	v_fma_f64 v[53:54], v[29:30], s[24:25], v[55:56]
	v_add_f64 v[55:56], v[5:6], v[1:2]
	v_fma_f64 v[37:38], v[37:38], -0.5, v[1:2]
	v_add_f64 v[51:52], v[39:40], v[51:52]
	v_add_f64 v[63:64], v[65:66], v[63:64]
	v_fma_f64 v[59:60], v[17:18], s[6:7], v[59:60]
	v_fma_f64 v[65:66], v[29:30], s[6:7], v[11:12]
	v_add_f64 v[19:20], v[31:32], -v[19:20]
	v_add_f64 v[31:32], v[35:36], -v[39:40]
	v_fma_f64 v[11:12], v[29:30], s[26:27], v[11:12]
	v_add_f64 v[35:36], v[13:14], v[55:56]
	v_fma_f64 v[39:40], v[61:62], s[6:7], v[37:38]
	v_add_f64 v[55:56], v[15:16], -v[27:28]
	v_add_f64 v[67:68], v[5:6], -v[13:14]
	;; [unrolled: 1-line block ×3, first 2 shown]
	v_fma_f64 v[29:30], v[29:30], s[22:23], v[59:60]
	v_fma_f64 v[59:60], v[17:18], s[24:25], v[65:66]
	v_add_f64 v[65:66], v[21:22], v[5:6]
	v_add_f64 v[19:20], v[31:32], v[19:20]
	v_fma_f64 v[11:12], v[17:18], s[22:23], v[11:12]
	v_add_f64 v[17:18], v[25:26], v[35:36]
	v_fma_f64 v[31:32], v[55:56], s[22:23], v[39:40]
	;; [unrolled: 2-line block ×3, first 2 shown]
	v_fma_f64 v[37:38], v[61:62], s[26:27], v[37:38]
	v_fma_f64 v[1:2], v[65:66], -0.5, v[1:2]
	v_fma_f64 v[53:54], v[19:20], s[2:3], v[59:60]
	v_fma_f64 v[11:12], v[19:20], s[2:3], v[11:12]
	v_add_f64 v[69:70], v[23:24], v[7:8]
	v_fma_f64 v[29:30], v[63:64], s[2:3], v[29:30]
	v_fma_f64 v[19:20], v[35:36], s[2:3], v[31:32]
	v_add_f64 v[31:32], v[27:28], v[15:16]
	v_fma_f64 v[37:38], v[55:56], s[24:25], v[37:38]
	v_fma_f64 v[59:60], v[55:56], s[26:27], v[1:2]
	v_add_f64 v[63:64], v[13:14], -v[5:6]
	v_add_f64 v[65:66], v[7:8], v[3:4]
	v_add_f64 v[67:68], v[25:26], -v[21:22]
	v_add_f64 v[13:14], v[13:14], -v[25:26]
	v_fma_f64 v[1:2], v[55:56], s[6:7], v[1:2]
	v_fma_f64 v[31:32], v[31:32], -0.5, v[3:4]
	v_fma_f64 v[3:4], v[69:70], -0.5, v[3:4]
	v_add_f64 v[5:6], v[5:6], -v[21:22]
	v_add_f64 v[17:18], v[21:22], v[17:18]
	v_fma_f64 v[21:22], v[35:36], s[2:3], v[37:38]
	v_fma_f64 v[35:36], v[61:62], s[22:23], v[59:60]
	v_add_f64 v[37:38], v[15:16], v[65:66]
	v_add_f64 v[25:26], v[67:68], v[63:64]
	v_add_f64 v[59:60], v[7:8], -v[15:16]
	v_fma_f64 v[63:64], v[13:14], s[6:7], v[3:4]
	v_add_f64 v[7:8], v[15:16], -v[7:8]
	v_add_f64 v[15:16], v[27:28], -v[23:24]
	v_fma_f64 v[3:4], v[13:14], s[26:27], v[3:4]
	v_fma_f64 v[1:2], v[61:62], s[24:25], v[1:2]
	;; [unrolled: 1-line block ×3, first 2 shown]
	v_add_f64 v[61:62], v[23:24], -v[27:28]
	v_fma_f64 v[31:32], v[5:6], s[6:7], v[31:32]
	v_add_f64 v[37:38], v[27:28], v[37:38]
	v_fma_f64 v[35:36], v[25:26], s[2:3], v[35:36]
	v_add_f64 v[7:8], v[15:16], v[7:8]
	v_fma_f64 v[3:4], v[5:6], s[22:23], v[3:4]
	v_fma_f64 v[1:2], v[25:26], s[2:3], v[1:2]
	;; [unrolled: 1-line block ×3, first 2 shown]
	v_add_f64 v[55:56], v[61:62], v[59:60]
	v_fma_f64 v[13:14], v[13:14], s[22:23], v[31:32]
	v_fma_f64 v[25:26], v[5:6], s[24:25], v[63:64]
	s_mov_b32 s30, 0x9b97f4a8
	s_mov_b32 s31, 0x3fe9e377
	v_fma_f64 v[3:4], v[7:8], s[2:3], v[3:4]
	v_add_f64 v[5:6], v[23:24], v[37:38]
	v_mul_f64 v[23:24], v[19:20], s[30:31]
	v_fma_f64 v[15:16], v[55:56], s[2:3], v[27:28]
	v_fma_f64 v[13:14], v[55:56], s[2:3], v[13:14]
	;; [unrolled: 1-line block ×3, first 2 shown]
	v_mul_f64 v[27:28], v[35:36], s[2:3]
	v_mul_f64 v[31:32], v[1:2], s[2:3]
	v_mul_f64 v[37:38], v[21:22], s[30:31]
	v_mul_f64 v[19:20], v[19:20], s[24:25]
	v_mul_f64 v[35:36], v[35:36], s[26:27]
	v_mul_f64 v[55:56], v[3:4], s[2:3]
	v_mul_f64 v[59:60], v[13:14], s[30:31]
	v_fma_f64 v[23:24], v[15:16], s[22:23], v[23:24]
	v_fma_f64 v[27:28], v[25:26], s[6:7], v[27:28]
	v_fma_f64 v[3:4], v[3:4], s[6:7], -v[31:32]
	v_fma_f64 v[13:14], v[13:14], s[22:23], -v[37:38]
	v_fma_f64 v[15:16], v[15:16], s[30:31], v[19:20]
	v_fma_f64 v[19:20], v[25:26], s[2:3], v[35:36]
	v_fma_f64 v[1:2], v[1:2], s[26:27], -v[55:56]
	v_fma_f64 v[21:22], v[21:22], s[24:25], -v[59:60]
	v_add_f64 v[7:8], v[17:18], v[47:48]
	v_add_f64 v[31:32], v[57:58], v[23:24]
	;; [unrolled: 1-line block ×7, first 2 shown]
	v_add_f64 v[17:18], v[47:48], -v[17:18]
	v_add_f64 v[61:62], v[53:54], v[19:20]
	v_add_f64 v[63:64], v[11:12], v[1:2]
	v_add_f64 v[23:24], v[57:58], -v[23:24]
	v_add_f64 v[27:28], v[33:34], -v[27:28]
	v_add_f64 v[65:66], v[29:30], v[21:22]
	v_add_f64 v[3:4], v[9:10], -v[3:4]
	v_add_f64 v[9:10], v[49:50], -v[13:14]
	;; [unrolled: 1-line block ×7, first 2 shown]
	v_mul_u32_u24_e32 v1, 0x3c0, v43
	v_lshlrev_b32_e32 v71, 3, v85
	v_add3_u32 v29, 0, v1, v71
	s_movk_i32 s30, 0xfca0
	v_mul_i32_i24_e32 v5, 0x60, v84
	ds_write2_b64 v29, v[7:8], v[31:32] offset1:12
	ds_write2_b64 v29, v[25:26], v[35:36] offset0:24 offset1:36
	ds_write2_b64 v29, v[37:38], v[17:18] offset0:48 offset1:60
	;; [unrolled: 1-line block ×4, first 2 shown]
	v_mad_i32_i24 v87, v43, s30, v29
	v_add3_u32 v92, 0, v5, v71
	v_mul_i32_i24_e32 v5, 0x60, v44
	v_mul_i32_i24_e32 v17, 0x60, v45
	v_add_u32_e32 v33, 0x1000, v87
	v_add3_u32 v88, 0, v5, v71
	v_add_u32_e32 v37, 0x1800, v87
	v_add3_u32 v67, 0, v17, v71
	v_mul_i32_i24_e32 v17, 0x60, v46
	s_waitcnt lgkmcnt(0)
	s_barrier
	ds_read_b64 v[9:10], v87
	ds_read_b64 v[47:48], v88
	ds_read2_b64 v[1:4], v33 offset0:88 offset1:208
	ds_read2_b64 v[5:8], v37 offset0:72 offset1:192
	v_add3_u32 v89, 0, v17, v71
	ds_read_b64 v[49:50], v67
	ds_read_b64 v[51:52], v89
	;; [unrolled: 1-line block ×3, first 2 shown]
	ds_read_b64 v[57:58], v87 offset:8640
	s_waitcnt lgkmcnt(0)
	s_barrier
	ds_write2_b64 v29, v[55:56], v[59:60] offset1:12
	ds_write2_b64 v29, v[61:62], v[63:64] offset0:24 offset1:36
	ds_write2_b64 v29, v[65:66], v[13:14] offset0:48 offset1:60
	;; [unrolled: 1-line block ×4, first 2 shown]
	v_mul_lo_u16_e32 v11, 26, v43
	v_mov_b32_e32 v12, 10
	v_mul_lo_u16_sdwa v11, v11, v12 dst_sel:DWORD dst_unused:UNUSED_PAD src0_sel:BYTE_1 src1_sel:DWORD
	v_sub_u16_e32 v11, v43, v11
	v_mov_b32_e32 v12, 4
	s_movk_i32 s30, 0xcd
	v_lshlrev_b32_sdwa v21, v12, v11 dst_sel:DWORD dst_unused:UNUSED_PAD src0_sel:DWORD src1_sel:BYTE_0
	v_mul_lo_u16_sdwa v12, v84, s30 dst_sel:DWORD dst_unused:UNUSED_PAD src0_sel:BYTE_0 src1_sel:DWORD
	v_lshrrev_b16_e32 v72, 11, v12
	v_mul_lo_u16_e32 v13, 10, v72
	v_sub_u16_e32 v13, v84, v13
	v_and_b32_e32 v73, 0xff, v13
	s_waitcnt lgkmcnt(0)
	s_barrier
	v_lshlrev_b32_e32 v22, 4, v73
	global_load_dwordx4 v[13:16], v21, s[20:21]
	global_load_dwordx4 v[17:20], v22, s[20:21]
	v_mul_lo_u16_sdwa v21, v44, s30 dst_sel:DWORD dst_unused:UNUSED_PAD src0_sel:BYTE_0 src1_sel:DWORD
	v_lshrrev_b16_e32 v74, 11, v21
	v_mul_lo_u16_e32 v21, 10, v74
	v_sub_u16_e32 v21, v44, v21
	v_and_b32_e32 v75, 0xff, v21
	v_mul_lo_u16_sdwa v21, v45, s30 dst_sel:DWORD dst_unused:UNUSED_PAD src0_sel:BYTE_0 src1_sel:DWORD
	v_lshrrev_b16_e32 v76, 11, v21
	v_mul_lo_u16_e32 v21, 10, v76
	v_sub_u16_e32 v21, v45, v21
	v_lshlrev_b32_e32 v29, 4, v75
	v_and_b32_e32 v77, 0xff, v21
	v_lshlrev_b32_e32 v30, 4, v77
	global_load_dwordx4 v[21:24], v29, s[20:21]
	global_load_dwordx4 v[25:28], v30, s[20:21]
	v_mul_lo_u16_sdwa v29, v46, s30 dst_sel:DWORD dst_unused:UNUSED_PAD src0_sel:BYTE_0 src1_sel:DWORD
	v_lshrrev_b16_e32 v78, 11, v29
	v_mul_lo_u16_e32 v29, 10, v78
	v_sub_u16_e32 v29, v46, v29
	v_and_b32_e32 v79, 0xff, v29
	v_lshlrev_b32_e32 v29, 4, v79
	global_load_dwordx4 v[29:32], v29, s[20:21]
	ds_read2_b64 v[33:36], v33 offset0:88 offset1:208
	ds_read_b64 v[44:45], v87
	ds_read_b64 v[55:56], v88
	ds_read2_b64 v[37:40], v37 offset0:72 offset1:192
	ds_read_b64 v[63:64], v67
	ds_read_b64 v[65:66], v89
	;; [unrolled: 1-line block ×3, first 2 shown]
	ds_read_b64 v[69:70], v87 offset:8640
	s_movk_i32 s30, 0x223
	v_mul_u32_u24_sdwa v0, v0, s30 dst_sel:DWORD dst_unused:UNUSED_PAD src0_sel:WORD_0 src1_sel:DWORD
	s_waitcnt vmcnt(0) lgkmcnt(0)
	s_barrier
	v_cmp_gt_u64_e32 vcc, s[28:29], v[41:42]
	s_or_b64 s[0:1], s[0:1], vcc
	v_mul_f64 v[59:60], v[33:34], v[15:16]
	v_mul_f64 v[15:16], v[1:2], v[15:16]
	;; [unrolled: 1-line block ×4, first 2 shown]
	v_fma_f64 v[1:2], v[1:2], v[13:14], -v[59:60]
	v_fma_f64 v[13:14], v[33:34], v[13:14], v[15:16]
	v_fma_f64 v[3:4], v[3:4], v[17:18], -v[61:62]
	v_fma_f64 v[15:16], v[35:36], v[17:18], v[19:20]
	v_mul_f64 v[17:18], v[37:38], v[23:24]
	v_mul_f64 v[19:20], v[5:6], v[23:24]
	;; [unrolled: 1-line block ×4, first 2 shown]
	v_add_f64 v[1:2], v[9:10], -v[1:2]
	v_add_f64 v[3:4], v[53:54], -v[3:4]
	;; [unrolled: 1-line block ×3, first 2 shown]
	v_mul_f64 v[33:34], v[69:70], v[31:32]
	v_mul_f64 v[31:32], v[57:58], v[31:32]
	v_fma_f64 v[5:6], v[5:6], v[21:22], -v[17:18]
	v_fma_f64 v[17:18], v[37:38], v[21:22], v[19:20]
	v_fma_f64 v[7:8], v[7:8], v[25:26], -v[23:24]
	v_fma_f64 v[19:20], v[39:40], v[25:26], v[27:28]
	v_fma_f64 v[9:10], v[9:10], 2.0, -v[1:2]
	v_fma_f64 v[21:22], v[57:58], v[29:30], -v[33:34]
	v_fma_f64 v[23:24], v[69:70], v[29:30], v[31:32]
	v_add_f64 v[32:33], v[67:68], -v[15:16]
	v_add_f64 v[5:6], v[47:48], -v[5:6]
	;; [unrolled: 1-line block ×4, first 2 shown]
	v_mov_b32_e32 v17, 20
	v_mul_lo_u16_sdwa v0, v0, v17 dst_sel:DWORD dst_unused:UNUSED_PAD src0_sel:WORD_1 src1_sel:DWORD
	v_add_f64 v[15:16], v[51:52], -v[21:22]
	v_add_u32_sdwa v0, v0, v11 dst_sel:DWORD dst_unused:UNUSED_PAD src0_sel:DWORD src1_sel:BYTE_0
	v_mul_u32_u24_e32 v0, 0x60, v0
	v_add3_u32 v40, 0, v0, v71
	v_mad_u32_u24 v0, v72, 20, v73
	v_add_f64 v[18:19], v[63:64], -v[19:20]
	v_add_f64 v[36:37], v[65:66], -v[23:24]
	v_fma_f64 v[20:21], v[53:54], 2.0, -v[3:4]
	v_fma_f64 v[22:23], v[47:48], 2.0, -v[5:6]
	;; [unrolled: 1-line block ×4, first 2 shown]
	v_mul_u32_u24_e32 v0, 0x60, v0
	v_add3_u32 v50, 0, v0, v71
	v_mad_u32_u24 v0, v74, 20, v75
	v_mul_u32_u24_e32 v0, 0x60, v0
	v_add3_u32 v51, 0, v0, v71
	v_mad_u32_u24 v0, v76, 20, v77
	;; [unrolled: 3-line block ×3, first 2 shown]
	v_mul_u32_u24_e32 v0, 0x60, v0
	v_fma_f64 v[30:31], v[44:45], 2.0, -v[13:14]
	v_add3_u32 v53, 0, v0, v71
	v_fma_f64 v[38:39], v[67:68], 2.0, -v[32:33]
	ds_write2_b64 v40, v[9:10], v[1:2] offset1:120
	ds_write2_b64 v50, v[20:21], v[3:4] offset1:120
	;; [unrolled: 1-line block ×5, first 2 shown]
	v_add_u32_e32 v27, 0x1400, v87
	v_add_u32_e32 v24, 0x1c00, v87
	v_fma_f64 v[44:45], v[55:56], 2.0, -v[34:35]
	s_waitcnt lgkmcnt(0)
	s_barrier
	ds_read_b64 v[28:29], v87
	ds_read_b64 v[22:23], v89
	ds_read2_b64 v[8:11], v27 offset0:80 offset1:200
	ds_read2_b64 v[0:3], v24 offset0:64 offset1:184
	ds_read_b64 v[20:21], v88
	ds_read_b64 v[16:17], v92
	v_add_u32_e32 v25, 0xb00, v87
	v_fma_f64 v[46:47], v[63:64], 2.0, -v[18:19]
	ds_read2_b64 v[4:7], v25 offset0:8 offset1:248
	v_fma_f64 v[48:49], v[65:66], 2.0, -v[36:37]
	s_waitcnt lgkmcnt(0)
	s_barrier
	ds_write2_b64 v40, v[30:31], v[13:14] offset1:120
	ds_write2_b64 v50, v[38:39], v[32:33] offset1:120
	;; [unrolled: 1-line block ×5, first 2 shown]
	s_waitcnt lgkmcnt(0)
	s_barrier
	s_and_saveexec_b64 s[28:29], s[0:1]
	s_cbranch_execz .LBB0_18
; %bb.17:
	v_and_b32_e32 v90, 0xffff, v43
	v_lshlrev_b32_e32 v95, 6, v90
	global_load_dwordx4 v[32:35], v95, s[20:21] offset:192
	v_lshrrev_b16_e32 v86, 12, v12
	v_mul_lo_u16_e32 v12, 20, v86
	v_sub_u16_e32 v12, v84, v12
	v_and_b32_e32 v26, 0xff, v12
	v_add_u32_e32 v12, 0x50, v26
	v_mul_lo_u32 v94, v12, v41
	s_add_i32 s28, 0, 0x2580
	s_movk_i32 s0, 0xffec
	v_mul_lo_u32 v40, v41, s0
	v_lshrrev_b32_e32 v13, 1, v94
	v_and_b32_e32 v12, 31, v94
	v_and_b32_e32 v18, 0x1f0, v13
	v_lshl_add_u32 v12, v12, 4, 0
	v_add_u32_e32 v18, s28, v18
	ds_read_b128 v[12:15], v12 offset:9600
	ds_read_b128 v[36:39], v18 offset:512
	v_add_u32_e32 v103, v94, v40
	v_add_u32_e32 v102, v103, v40
	v_mul_lo_u32 v98, v26, v41
	v_add_u32_e32 v100, v102, v40
	s_waitcnt lgkmcnt(0)
	v_mul_f64 v[18:19], v[14:15], v[38:39]
	v_mul_f64 v[30:31], v[12:13], v[38:39]
	v_and_b32_e32 v38, 31, v103
	v_lshl_add_u32 v38, v38, 4, 0
	ds_read_b128 v[42:45], v38 offset:9600
	v_lshrrev_b32_e32 v38, 1, v103
	v_and_b32_e32 v38, 0x1f0, v38
	v_add_u32_e32 v38, s28, v38
	ds_read_b128 v[46:49], v38 offset:512
	v_fma_f64 v[80:81], v[12:13], v[36:37], -v[18:19]
	v_fma_f64 v[82:83], v[14:15], v[36:37], v[30:31]
	v_lshrrev_b32_e32 v36, 1, v102
	v_and_b32_e32 v12, 31, v102
	s_waitcnt lgkmcnt(0)
	v_mul_f64 v[18:19], v[44:45], v[48:49]
	v_mul_f64 v[30:31], v[42:43], v[48:49]
	v_and_b32_e32 v36, 0x1f0, v36
	v_lshl_add_u32 v12, v12, 4, 0
	v_add_u32_e32 v36, s28, v36
	ds_read_b128 v[12:15], v12 offset:9600
	ds_read_b128 v[36:39], v36 offset:512
	v_or_b32_e32 v91, 0x50, v90
	v_fma_f64 v[64:65], v[42:43], v[46:47], -v[18:19]
	v_fma_f64 v[68:69], v[44:45], v[46:47], v[30:31]
	v_mul_lo_u32 v101, v91, v41
	s_waitcnt lgkmcnt(0)
	v_mul_f64 v[18:19], v[14:15], v[38:39]
	v_mul_f64 v[30:31], v[12:13], v[38:39]
	v_and_b32_e32 v38, 31, v98
	v_lshl_add_u32 v38, v38, 4, 0
	ds_read_b128 v[42:45], v38 offset:9600
	v_lshrrev_b32_e32 v38, 1, v98
	v_and_b32_e32 v38, 0x1f0, v38
	v_add_u32_e32 v38, s28, v38
	ds_read_b128 v[46:49], v38 offset:512
	v_fma_f64 v[58:59], v[14:15], v[36:37], v[30:31]
	v_fma_f64 v[56:57], v[12:13], v[36:37], -v[18:19]
	v_and_b32_e32 v12, 31, v100
	v_lshl_add_u32 v12, v12, 4, 0
	s_waitcnt lgkmcnt(0)
	v_mul_f64 v[30:31], v[42:43], v[48:49]
	ds_read_b128 v[12:15], v12 offset:9600
	v_mul_f64 v[18:19], v[44:45], v[48:49]
	v_add_u32_e32 v99, v101, v40
	v_add_u32_e32 v97, v99, v40
	;; [unrolled: 1-line block ×3, first 2 shown]
	v_mul_lo_u32 v93, v90, v41
	s_load_dwordx2 s[0:1], s[4:5], 0x60
	v_fma_f64 v[50:51], v[44:45], v[46:47], v[30:31]
	v_lshrrev_b32_e32 v30, 1, v100
	v_and_b32_e32 v30, 0x1f0, v30
	v_add_u32_e32 v30, s28, v30
	ds_read_b128 v[36:39], v30 offset:512
	v_fma_f64 v[18:19], v[42:43], v[46:47], -v[18:19]
	v_lshlrev_b32_e32 v42, 6, v26
	s_mul_i32 s4, s15, s18
	s_mul_hi_u32 s5, s14, s18
	s_waitcnt lgkmcnt(0)
	v_mul_f64 v[30:31], v[14:15], v[38:39]
	v_mul_f64 v[38:39], v[12:13], v[38:39]
	s_add_i32 s5, s5, s4
	s_mul_i32 s4, s14, s18
	s_lshl_b64 s[4:5], s[4:5], 4
	v_fma_f64 v[12:13], v[12:13], v[36:37], -v[30:31]
	v_fma_f64 v[14:15], v[14:15], v[36:37], v[38:39]
	ds_read2_b64 v[36:39], v27 offset0:80 offset1:200
	s_waitcnt vmcnt(0)
	v_mul_f64 v[30:31], v[8:9], v[34:35]
	s_waitcnt lgkmcnt(0)
	v_mul_f64 v[34:35], v[36:37], v[34:35]
	v_fma_f64 v[30:31], v[36:37], v[32:33], v[30:31]
	v_fma_f64 v[32:33], v[8:9], v[32:33], -v[34:35]
	global_load_dwordx4 v[34:37], v42, s[20:21] offset:192
	s_waitcnt vmcnt(0)
	v_mul_f64 v[8:9], v[10:11], v[36:37]
	v_fma_f64 v[60:61], v[38:39], v[34:35], v[8:9]
	v_mul_f64 v[8:9], v[38:39], v[36:37]
	v_fma_f64 v[62:63], v[10:11], v[34:35], -v[8:9]
	global_load_dwordx4 v[8:11], v42, s[20:21] offset:176
	ds_read2_b64 v[34:37], v25 offset0:8 offset1:248
	s_waitcnt vmcnt(0)
	v_mul_f64 v[26:27], v[6:7], v[10:11]
	s_waitcnt lgkmcnt(0)
	v_mul_f64 v[10:11], v[36:37], v[10:11]
	v_fma_f64 v[66:67], v[36:37], v[8:9], v[26:27]
	v_fma_f64 v[70:71], v[6:7], v[8:9], -v[10:11]
	global_load_dwordx4 v[6:9], v42, s[20:21] offset:160
	v_add_f64 v[112:113], v[66:67], -v[60:61]
	v_add_f64 v[116:117], v[70:71], -v[62:63]
	s_waitcnt vmcnt(0)
	v_mul_f64 v[10:11], v[4:5], v[8:9]
	v_mul_f64 v[8:9], v[34:35], v[8:9]
	v_fma_f64 v[72:73], v[34:35], v[6:7], v[10:11]
	v_fma_f64 v[76:77], v[4:5], v[6:7], -v[8:9]
	global_load_dwordx4 v[4:7], v42, s[20:21] offset:208
	ds_read2_b64 v[8:11], v24 offset0:64 offset1:184
	s_waitcnt vmcnt(0)
	v_mul_f64 v[25:26], v[2:3], v[6:7]
	s_waitcnt lgkmcnt(0)
	v_mul_f64 v[6:7], v[10:11], v[6:7]
	v_fma_f64 v[74:75], v[10:11], v[4:5], v[25:26]
	v_fma_f64 v[78:79], v[2:3], v[4:5], -v[6:7]
	global_load_dwordx4 v[2:5], v95, s[20:21] offset:208
	v_add_f64 v[110:111], v[72:73], -v[74:75]
	v_add_f64 v[114:115], v[76:77], -v[78:79]
	;; [unrolled: 1-line block ×3, first 2 shown]
	s_waitcnt vmcnt(0)
	v_mul_f64 v[6:7], v[0:1], v[4:5]
	v_mul_f64 v[4:5], v[8:9], v[4:5]
	v_fma_f64 v[34:35], v[8:9], v[2:3], v[6:7]
	v_fma_f64 v[36:37], v[0:1], v[2:3], -v[4:5]
	v_lshrrev_b32_e32 v1, 1, v101
	v_and_b32_e32 v0, 31, v101
	v_and_b32_e32 v1, 0x1f0, v1
	v_lshl_add_u32 v0, v0, 4, 0
	v_add_u32_e32 v4, s28, v1
	ds_read_b128 v[0:3], v0 offset:9600
	ds_read_b128 v[4:7], v4 offset:512
	s_waitcnt lgkmcnt(0)
	v_mul_f64 v[8:9], v[2:3], v[6:7]
	v_fma_f64 v[52:53], v[0:1], v[4:5], -v[8:9]
	v_mul_f64 v[0:1], v[0:1], v[6:7]
	v_fma_f64 v[54:55], v[2:3], v[4:5], v[0:1]
	v_lshrrev_b32_e32 v1, 1, v99
	v_and_b32_e32 v0, 31, v99
	v_and_b32_e32 v1, 0x1f0, v1
	v_lshl_add_u32 v0, v0, 4, 0
	v_add_u32_e32 v4, s28, v1
	ds_read_b128 v[0:3], v0 offset:9600
	ds_read_b128 v[4:7], v4 offset:512
	s_waitcnt lgkmcnt(0)
	v_mul_f64 v[8:9], v[2:3], v[6:7]
	v_fma_f64 v[24:25], v[0:1], v[4:5], -v[8:9]
	v_mul_f64 v[0:1], v[0:1], v[6:7]
	v_fma_f64 v[26:27], v[2:3], v[4:5], v[0:1]
	;; [unrolled: 12-line block ×4, first 2 shown]
	v_lshrrev_b32_e32 v1, 1, v93
	v_and_b32_e32 v0, 31, v93
	v_and_b32_e32 v1, 0x1f0, v1
	v_lshl_add_u32 v0, v0, 4, 0
	v_add_u32_e32 v4, s28, v1
	ds_read_b128 v[0:3], v0 offset:9600
	ds_read_b128 v[4:7], v4 offset:512
	ds_read_b64 v[104:105], v92
	s_waitcnt lgkmcnt(1)
	v_mul_f64 v[8:9], v[2:3], v[6:7]
	v_fma_f64 v[38:39], v[0:1], v[4:5], -v[8:9]
	v_mul_f64 v[0:1], v[0:1], v[6:7]
	v_add_f64 v[6:7], v[74:75], -v[60:61]
	v_fma_f64 v[40:41], v[2:3], v[4:5], v[0:1]
	v_lshrrev_b32_e32 v0, 6, v94
	v_and_b32_e32 v0, 0x1f0, v0
	v_add_u32_e32 v0, s28, v0
	ds_read_b128 v[0:3], v0 offset:1024
	s_waitcnt lgkmcnt(0)
	v_mul_f64 v[4:5], v[82:83], v[2:3]
	v_mul_f64 v[2:3], v[80:81], v[2:3]
	v_fma_f64 v[4:5], v[0:1], v[80:81], -v[4:5]
	v_fma_f64 v[0:1], v[0:1], v[82:83], v[2:3]
	v_add_f64 v[2:3], v[72:73], -v[66:67]
	v_add_f64 v[80:81], v[2:3], v[6:7]
	v_add_f64 v[2:3], v[76:77], -v[70:71]
	v_add_f64 v[6:7], v[78:79], -v[62:63]
	v_add_f64 v[82:83], v[2:3], v[6:7]
	v_add_f64 v[2:3], v[66:67], v[60:61]
	v_fma_f64 v[106:107], v[2:3], -0.5, v[104:105]
	v_add_f64 v[2:3], v[70:71], v[62:63]
	v_fma_f64 v[6:7], v[114:115], s[6:7], v[106:107]
	v_fma_f64 v[108:109], v[2:3], -0.5, v[16:17]
	v_fma_f64 v[6:7], v[116:117], s[22:23], v[6:7]
	v_fma_f64 v[2:3], v[110:111], s[26:27], v[108:109]
	;; [unrolled: 1-line block ×5, first 2 shown]
	v_mul_f64 v[6:7], v[8:9], v[0:1]
	v_mul_f64 v[0:1], v[2:3], v[0:1]
	v_fma_f64 v[2:3], v[2:3], v[4:5], v[6:7]
	v_fma_f64 v[0:1], v[8:9], v[4:5], -v[0:1]
	v_lshrrev_b32_e32 v4, 6, v103
	v_and_b32_e32 v4, 0x1f0, v4
	v_add_u32_e32 v4, s28, v4
	ds_read_b128 v[4:7], v4 offset:1024
	s_waitcnt lgkmcnt(0)
	v_mul_f64 v[8:9], v[68:69], v[6:7]
	v_mul_f64 v[6:7], v[64:65], v[6:7]
	v_fma_f64 v[8:9], v[4:5], v[64:65], -v[8:9]
	v_fma_f64 v[4:5], v[4:5], v[68:69], v[6:7]
	v_add_f64 v[6:7], v[66:67], -v[72:73]
	v_add_f64 v[64:65], v[6:7], v[10:11]
	v_add_f64 v[6:7], v[70:71], -v[76:77]
	v_add_f64 v[10:11], v[62:63], -v[78:79]
	v_add_f64 v[68:69], v[6:7], v[10:11]
	v_add_f64 v[6:7], v[76:77], v[78:79]
	v_fma_f64 v[118:119], v[6:7], -0.5, v[16:17]
	v_add_f64 v[6:7], v[72:73], v[74:75]
	v_add_f64 v[16:17], v[16:17], v[76:77]
	v_fma_f64 v[120:121], v[6:7], -0.5, v[104:105]
	v_fma_f64 v[6:7], v[112:113], s[6:7], v[118:119]
	v_add_f64 v[16:17], v[16:17], v[70:71]
	v_fma_f64 v[10:11], v[116:117], s[26:27], v[120:121]
	v_fma_f64 v[6:7], v[110:111], s[24:25], v[6:7]
	v_add_f64 v[16:17], v[16:17], v[62:63]
	v_fma_f64 v[10:11], v[114:115], s[22:23], v[10:11]
	;; [unrolled: 3-line block ×3, first 2 shown]
	v_mul_f64 v[10:11], v[122:123], v[4:5]
	v_mul_f64 v[4:5], v[6:7], v[4:5]
	v_fma_f64 v[6:7], v[6:7], v[8:9], v[10:11]
	v_fma_f64 v[4:5], v[122:123], v[8:9], -v[4:5]
	v_lshrrev_b32_e32 v8, 6, v102
	v_and_b32_e32 v8, 0x1f0, v8
	v_add_u32_e32 v8, s28, v8
	ds_read_b128 v[8:11], v8 offset:1024
	s_waitcnt lgkmcnt(0)
	v_mul_f64 v[102:103], v[58:59], v[10:11]
	v_mul_f64 v[10:11], v[56:57], v[10:11]
	v_fma_f64 v[102:103], v[8:9], v[56:57], -v[102:103]
	v_fma_f64 v[8:9], v[8:9], v[58:59], v[10:11]
	v_fma_f64 v[10:11], v[112:113], s[26:27], v[118:119]
	;; [unrolled: 1-line block ×5, first 2 shown]
	ds_read_b64 v[68:69], v87
	v_mul_f64 v[58:59], v[56:57], v[8:9]
	v_fma_f64 v[10:11], v[114:115], s[24:25], v[10:11]
	v_fma_f64 v[10:11], v[64:65], s[2:3], v[10:11]
	v_mul_f64 v[8:9], v[10:11], v[8:9]
	v_fma_f64 v[10:11], v[10:11], v[102:103], v[58:59]
	v_fma_f64 v[8:9], v[56:57], v[102:103], -v[8:9]
	v_lshrrev_b32_e32 v56, 6, v100
	v_and_b32_e32 v56, 0x1f0, v56
	v_add_u32_e32 v56, s28, v56
	ds_read_b128 v[56:59], v56 offset:1024
	s_waitcnt lgkmcnt(0)
	v_mul_f64 v[64:65], v[14:15], v[58:59]
	v_fma_f64 v[64:65], v[56:57], v[12:13], -v[64:65]
	v_mul_f64 v[12:13], v[12:13], v[58:59]
	v_fma_f64 v[12:13], v[56:57], v[14:15], v[12:13]
	v_fma_f64 v[14:15], v[110:111], s[6:7], v[108:109]
	v_fma_f64 v[56:57], v[114:115], s[26:27], v[106:107]
	v_fma_f64 v[14:15], v[112:113], s[22:23], v[14:15]
	v_fma_f64 v[56:57], v[116:117], s[24:25], v[56:57]
	v_fma_f64 v[58:59], v[82:83], s[2:3], v[14:15]
	v_fma_f64 v[14:15], v[80:81], s[2:3], v[56:57]
	v_mul_f64 v[56:57], v[58:59], v[12:13]
	v_mul_f64 v[12:13], v[14:15], v[12:13]
	v_fma_f64 v[14:15], v[14:15], v[64:65], v[56:57]
	v_lshrrev_b32_e32 v56, 6, v98
	v_and_b32_e32 v56, 0x1f0, v56
	v_add_u32_e32 v56, s28, v56
	v_fma_f64 v[12:13], v[58:59], v[64:65], -v[12:13]
	ds_read_b128 v[56:59], v56 offset:1024
	s_waitcnt lgkmcnt(0)
	v_mul_f64 v[64:65], v[50:51], v[58:59]
	v_fma_f64 v[64:65], v[56:57], v[18:19], -v[64:65]
	v_mul_f64 v[18:19], v[18:19], v[58:59]
	v_fma_f64 v[18:19], v[56:57], v[50:51], v[18:19]
	v_add_f64 v[50:51], v[104:105], v[72:73]
	v_mul_f64 v[56:57], v[16:17], v[18:19]
	v_add_f64 v[50:51], v[50:51], v[66:67]
	v_add_f64 v[50:51], v[50:51], v[60:61]
	;; [unrolled: 1-line block ×3, first 2 shown]
	v_mul_f64 v[58:59], v[50:51], v[18:19]
	v_fma_f64 v[18:19], v[50:51], v[64:65], v[56:57]
	ds_read_b64 v[50:51], v89
	v_fma_f64 v[16:17], v[16:17], v[64:65], -v[58:59]
	global_load_dwordx4 v[56:59], v95, s[20:21] offset:176
	s_waitcnt vmcnt(0)
	v_mul_f64 v[60:61], v[22:23], v[58:59]
	s_waitcnt lgkmcnt(0)
	v_fma_f64 v[60:61], v[50:51], v[56:57], v[60:61]
	v_mul_f64 v[50:51], v[50:51], v[58:59]
	v_add_f64 v[76:77], v[60:61], -v[30:31]
	v_fma_f64 v[62:63], v[22:23], v[56:57], -v[50:51]
	global_load_dwordx4 v[56:59], v95, s[20:21] offset:160
	ds_read_b64 v[22:23], v88
	v_add_f64 v[80:81], v[62:63], -v[32:33]
	s_waitcnt vmcnt(0)
	v_mul_f64 v[50:51], v[20:21], v[58:59]
	s_waitcnt lgkmcnt(0)
	v_fma_f64 v[64:65], v[22:23], v[56:57], v[50:51]
	v_mul_f64 v[22:23], v[22:23], v[58:59]
	v_add_f64 v[74:75], v[64:65], -v[34:35]
	v_fma_f64 v[66:67], v[20:21], v[56:57], -v[22:23]
	v_lshrrev_b32_e32 v20, 6, v101
	v_and_b32_e32 v20, 0x1f0, v20
	v_add_u32_e32 v20, s28, v20
	ds_read_b128 v[20:23], v20 offset:1024
	v_add_f64 v[78:79], v[66:67], -v[36:37]
	s_waitcnt lgkmcnt(0)
	v_mul_f64 v[50:51], v[54:55], v[22:23]
	v_mul_f64 v[22:23], v[52:53], v[22:23]
	v_fma_f64 v[56:57], v[20:21], v[52:53], -v[50:51]
	v_fma_f64 v[20:21], v[20:21], v[54:55], v[22:23]
	v_add_f64 v[22:23], v[64:65], -v[60:61]
	v_add_f64 v[50:51], v[34:35], -v[30:31]
	;; [unrolled: 1-line block ×3, first 2 shown]
	v_add_f64 v[50:51], v[22:23], v[50:51]
	v_add_f64 v[22:23], v[66:67], -v[62:63]
	v_add_f64 v[52:53], v[22:23], v[52:53]
	v_add_f64 v[22:23], v[60:61], v[30:31]
	v_fma_f64 v[70:71], v[22:23], -0.5, v[68:69]
	v_add_f64 v[22:23], v[62:63], v[32:33]
	v_fma_f64 v[54:55], v[78:79], s[6:7], v[70:71]
	v_fma_f64 v[72:73], v[22:23], -0.5, v[28:29]
	v_fma_f64 v[54:55], v[80:81], s[22:23], v[54:55]
	v_fma_f64 v[22:23], v[74:75], s[26:27], v[72:73]
	;; [unrolled: 1-line block ×6, first 2 shown]
	v_mul_f64 v[54:55], v[58:59], v[20:21]
	v_mul_f64 v[20:21], v[22:23], v[20:21]
	v_fma_f64 v[22:23], v[22:23], v[56:57], v[54:55]
	v_lshrrev_b32_e32 v54, 6, v99
	v_and_b32_e32 v54, 0x1f0, v54
	v_add_u32_e32 v54, s28, v54
	v_fma_f64 v[20:21], v[58:59], v[56:57], -v[20:21]
	ds_read_b128 v[54:57], v54 offset:1024
	s_waitcnt lgkmcnt(0)
	v_mul_f64 v[58:59], v[26:27], v[56:57]
	v_fma_f64 v[58:59], v[54:55], v[24:25], -v[58:59]
	v_mul_f64 v[24:25], v[24:25], v[56:57]
	v_fma_f64 v[24:25], v[54:55], v[26:27], v[24:25]
	v_add_f64 v[26:27], v[60:61], -v[64:65]
	v_add_f64 v[54:55], v[30:31], -v[34:35]
	v_add_f64 v[82:83], v[26:27], v[54:55]
	v_add_f64 v[26:27], v[62:63], -v[66:67]
	v_add_f64 v[54:55], v[32:33], -v[36:37]
	v_add_f64 v[87:88], v[26:27], v[54:55]
	v_add_f64 v[26:27], v[66:67], v[36:37]
	v_fma_f64 v[94:95], v[26:27], -0.5, v[28:29]
	v_add_f64 v[26:27], v[64:65], v[34:35]
	v_add_f64 v[64:65], v[68:69], v[64:65]
	;; [unrolled: 1-line block ×3, first 2 shown]
	v_fma_f64 v[98:99], v[26:27], -0.5, v[68:69]
	v_fma_f64 v[26:27], v[76:77], s[6:7], v[94:95]
	v_add_f64 v[28:29], v[28:29], v[62:63]
	v_fma_f64 v[54:55], v[80:81], s[26:27], v[98:99]
	v_fma_f64 v[26:27], v[74:75], s[24:25], v[26:27]
	v_add_f64 v[28:29], v[28:29], v[32:33]
	v_fma_f64 v[54:55], v[78:79], s[22:23], v[54:55]
	v_fma_f64 v[56:57], v[87:88], s[2:3], v[26:27]
	v_add_f64 v[36:37], v[28:29], v[36:37]
	v_fma_f64 v[26:27], v[82:83], s[2:3], v[54:55]
	v_mul_f64 v[54:55], v[56:57], v[24:25]
	v_mul_f64 v[24:25], v[26:27], v[24:25]
	v_fma_f64 v[26:27], v[26:27], v[58:59], v[54:55]
	v_lshrrev_b32_e32 v54, 6, v97
	v_and_b32_e32 v54, 0x1f0, v54
	v_add_u32_e32 v54, s28, v54
	v_fma_f64 v[24:25], v[56:57], v[58:59], -v[24:25]
	ds_read_b128 v[56:59], v54 offset:1024
	s_waitcnt lgkmcnt(0)
	v_mul_f64 v[54:55], v[48:49], v[58:59]
	v_fma_f64 v[54:55], v[56:57], v[44:45], -v[54:55]
	v_mul_f64 v[44:45], v[44:45], v[58:59]
	v_fma_f64 v[48:49], v[56:57], v[48:49], v[44:45]
	v_lshrrev_b32_e32 v44, 6, v96
	v_and_b32_e32 v44, 0x1f0, v44
	v_add_u32_e32 v44, s28, v44
	ds_read_b128 v[56:59], v44 offset:1024
	s_waitcnt lgkmcnt(0)
	v_mul_f64 v[44:45], v[46:47], v[58:59]
	v_fma_f64 v[44:45], v[56:57], v[42:43], -v[44:45]
	v_mul_f64 v[42:43], v[42:43], v[58:59]
	v_fma_f64 v[58:59], v[78:79], s[26:27], v[70:71]
	v_fma_f64 v[56:57], v[56:57], v[46:47], v[42:43]
	;; [unrolled: 1-line block ×5, first 2 shown]
	v_add_f64 v[58:59], v[64:65], v[60:61]
	v_lshrrev_b32_e32 v60, 6, v93
	v_and_b32_e32 v60, 0x1f0, v60
	v_add_u32_e32 v60, s28, v60
	ds_read_b128 v[60:63], v60 offset:1024
	v_fma_f64 v[42:43], v[78:79], s[24:25], v[42:43]
	v_fma_f64 v[70:71], v[74:75], s[22:23], v[46:47]
	;; [unrolled: 1-line block ×3, first 2 shown]
	v_add_f64 v[58:59], v[58:59], v[30:31]
	s_waitcnt lgkmcnt(0)
	v_mul_f64 v[32:33], v[38:39], v[62:63]
	v_mul_f64 v[62:63], v[40:41], v[62:63]
	s_mul_i32 s6, s13, s16
	s_mul_hi_u32 s7, s12, s16
	v_fma_f64 v[46:47], v[82:83], s[2:3], v[42:43]
	v_fma_f64 v[42:43], v[87:88], s[2:3], v[70:71]
	;; [unrolled: 1-line block ×3, first 2 shown]
	s_add_i32 s7, s7, s6
	v_fma_f64 v[40:41], v[60:61], v[40:41], v[32:33]
	s_mul_i32 s6, s12, s16
	s_mul_i32 s12, s10, s19
	s_mul_hi_u32 s13, s10, s17
	s_add_i32 s12, s13, s12
	v_mul_f64 v[64:65], v[42:43], v[48:49]
	v_fma_f64 v[52:53], v[52:53], s[2:3], v[70:71]
	v_mul_f64 v[48:49], v[46:47], v[48:49]
	s_mul_i32 s13, s11, s17
	s_add_i32 s13, s12, s13
	s_mul_i32 s12, s10, s17
	s_add_u32 s3, s0, s4
	s_addc_u32 s4, s1, s5
	v_fma_f64 v[30:31], v[46:47], v[54:55], v[64:65]
	v_mul_f64 v[66:67], v[52:53], v[56:57]
	v_mul_f64 v[56:57], v[50:51], v[56:57]
	v_add_f64 v[46:47], v[58:59], v[34:35]
	v_fma_f64 v[28:29], v[42:43], v[54:55], -v[48:49]
	v_fma_f64 v[42:43], v[60:61], v[38:39], -v[62:63]
	v_mul_f64 v[38:39], v[36:37], v[40:41]
	v_mad_u64_u32 v[48:49], s[14:15], s8, v90, 0
	v_fma_f64 v[34:35], v[50:51], v[44:45], v[66:67]
	v_fma_f64 v[32:33], v[52:53], v[44:45], -v[56:57]
	v_mad_u64_u32 v[44:45], s[14:15], s10, v85, 0
	v_mul_f64 v[40:41], v[46:47], v[40:41]
	s_lshl_b64 s[0:1], s[6:7], 4
	v_mad_u64_u32 v[50:51], s[10:11], s11, v85, v[45:46]
	v_mov_b32_e32 v45, v49
	s_add_u32 s3, s3, s0
	v_mad_u64_u32 v[51:52], s[10:11], s9, v90, v[45:46]
	v_mov_b32_e32 v45, v50
	s_addc_u32 s4, s4, s1
	s_lshl_b64 s[0:1], s[12:13], 4
	v_fma_f64 v[36:37], v[36:37], v[42:43], -v[40:41]
	s_add_u32 s0, s3, s0
	v_lshlrev_b64 v[40:41], 4, v[44:45]
	s_addc_u32 s1, s4, s1
	v_fma_f64 v[38:39], v[46:47], v[42:43], v[38:39]
	v_add_co_u32_e32 v46, vcc, s0, v40
	v_mov_b32_e32 v40, s1
	v_add_u32_e32 v44, 20, v90
	v_mov_b32_e32 v49, v51
	v_addc_co_u32_e32 v47, vcc, v40, v41, vcc
	v_mad_u64_u32 v[40:41], s[0:1], s8, v44, 0
	v_lshlrev_b64 v[42:43], 4, v[48:49]
	s_movk_i32 s2, 0x50
	v_add_co_u32_e32 v42, vcc, v46, v42
	v_mad_u64_u32 v[44:45], s[0:1], s9, v44, v[41:42]
	v_addc_co_u32_e32 v43, vcc, v47, v43, vcc
	global_store_dwordx4 v[42:43], v[36:39], off
	v_add_u32_e32 v42, 40, v90
	v_mov_b32_e32 v41, v44
	v_mad_u64_u32 v[36:37], s[0:1], s8, v42, 0
	v_lshlrev_b64 v[38:39], 4, v[40:41]
	v_add_co_u32_e32 v38, vcc, v46, v38
	v_mad_u64_u32 v[40:41], s[0:1], s9, v42, v[37:38]
	v_addc_co_u32_e32 v39, vcc, v47, v39, vcc
	global_store_dwordx4 v[38:39], v[32:35], off
	v_add_u32_e32 v38, 60, v90
	v_mov_b32_e32 v37, v40
	v_mad_u64_u32 v[32:33], s[0:1], s8, v38, 0
	v_lshlrev_b64 v[34:35], 4, v[36:37]
	v_add_co_u32_e32 v34, vcc, v46, v34
	v_mad_u64_u32 v[36:37], s[0:1], s9, v38, v[33:34]
	v_addc_co_u32_e32 v35, vcc, v47, v35, vcc
	global_store_dwordx4 v[34:35], v[28:31], off
	v_mov_b32_e32 v33, v36
	v_mad_u64_u32 v[28:29], s[0:1], s8, v91, 0
	v_lshlrev_b64 v[30:31], 4, v[32:33]
	v_add_co_u32_e32 v30, vcc, v46, v30
	v_mad_u64_u32 v[32:33], s[0:1], s9, v91, v[29:30]
	v_addc_co_u32_e32 v31, vcc, v47, v31, vcc
	global_store_dwordx4 v[30:31], v[24:27], off
	v_mad_u32_u24 v30, v86, s2, v84
	v_mov_b32_e32 v29, v32
	v_mad_u64_u32 v[24:25], s[0:1], s8, v30, 0
	v_lshlrev_b64 v[26:27], 4, v[28:29]
	v_add_co_u32_e32 v26, vcc, v46, v26
	v_mad_u64_u32 v[28:29], s[0:1], s9, v30, v[25:26]
	v_addc_co_u32_e32 v27, vcc, v47, v27, vcc
	global_store_dwordx4 v[26:27], v[20:23], off
	v_add_u32_e32 v26, 20, v30
	v_mov_b32_e32 v25, v28
	v_mad_u64_u32 v[20:21], s[0:1], s8, v26, 0
	v_lshlrev_b64 v[22:23], 4, v[24:25]
	v_add_co_u32_e32 v22, vcc, v46, v22
	v_mad_u64_u32 v[24:25], s[0:1], s9, v26, v[21:22]
	v_addc_co_u32_e32 v23, vcc, v47, v23, vcc
	global_store_dwordx4 v[22:23], v[16:19], off
	v_add_u32_e32 v22, 40, v30
	;; [unrolled: 8-line block ×4, first 2 shown]
	v_mov_b32_e32 v13, v16
	v_mad_u64_u32 v[8:9], s[0:1], s8, v14, 0
	v_lshlrev_b64 v[10:11], 4, v[12:13]
	v_add_co_u32_e32 v10, vcc, v46, v10
	v_mad_u64_u32 v[12:13], s[0:1], s9, v14, v[9:10]
	v_addc_co_u32_e32 v11, vcc, v47, v11, vcc
	v_mov_b32_e32 v9, v12
	global_store_dwordx4 v[10:11], v[4:7], off
	s_nop 0
	v_lshlrev_b64 v[4:5], 4, v[8:9]
	v_add_co_u32_e32 v4, vcc, v46, v4
	v_addc_co_u32_e32 v5, vcc, v47, v5, vcc
	global_store_dwordx4 v[4:5], v[0:3], off
.LBB0_18:
	s_endpgm
	.section	.rodata,"a",@progbits
	.p2align	6, 0x0
	.amdhsa_kernel fft_rtc_fwd_len100_factors_10_2_5_wgs_120_tpt_10_halfLds_dim3_dp_op_CI_CI_sbcc_twdbase5_3step_dirReg
		.amdhsa_group_segment_fixed_size 0
		.amdhsa_private_segment_fixed_size 0
		.amdhsa_kernarg_size 104
		.amdhsa_user_sgpr_count 6
		.amdhsa_user_sgpr_private_segment_buffer 1
		.amdhsa_user_sgpr_dispatch_ptr 0
		.amdhsa_user_sgpr_queue_ptr 0
		.amdhsa_user_sgpr_kernarg_segment_ptr 1
		.amdhsa_user_sgpr_dispatch_id 0
		.amdhsa_user_sgpr_flat_scratch_init 0
		.amdhsa_user_sgpr_private_segment_size 0
		.amdhsa_uses_dynamic_stack 0
		.amdhsa_system_sgpr_private_segment_wavefront_offset 0
		.amdhsa_system_sgpr_workgroup_id_x 1
		.amdhsa_system_sgpr_workgroup_id_y 0
		.amdhsa_system_sgpr_workgroup_id_z 0
		.amdhsa_system_sgpr_workgroup_info 0
		.amdhsa_system_vgpr_workitem_id 0
		.amdhsa_next_free_vgpr 124
		.amdhsa_next_free_sgpr 38
		.amdhsa_reserve_vcc 1
		.amdhsa_reserve_flat_scratch 0
		.amdhsa_float_round_mode_32 0
		.amdhsa_float_round_mode_16_64 0
		.amdhsa_float_denorm_mode_32 3
		.amdhsa_float_denorm_mode_16_64 3
		.amdhsa_dx10_clamp 1
		.amdhsa_ieee_mode 1
		.amdhsa_fp16_overflow 0
		.amdhsa_exception_fp_ieee_invalid_op 0
		.amdhsa_exception_fp_denorm_src 0
		.amdhsa_exception_fp_ieee_div_zero 0
		.amdhsa_exception_fp_ieee_overflow 0
		.amdhsa_exception_fp_ieee_underflow 0
		.amdhsa_exception_fp_ieee_inexact 0
		.amdhsa_exception_int_div_zero 0
	.end_amdhsa_kernel
	.text
.Lfunc_end0:
	.size	fft_rtc_fwd_len100_factors_10_2_5_wgs_120_tpt_10_halfLds_dim3_dp_op_CI_CI_sbcc_twdbase5_3step_dirReg, .Lfunc_end0-fft_rtc_fwd_len100_factors_10_2_5_wgs_120_tpt_10_halfLds_dim3_dp_op_CI_CI_sbcc_twdbase5_3step_dirReg
                                        ; -- End function
	.section	.AMDGPU.csdata,"",@progbits
; Kernel info:
; codeLenInByte = 8524
; NumSgprs: 42
; NumVgprs: 124
; ScratchSize: 0
; MemoryBound: 1
; FloatMode: 240
; IeeeMode: 1
; LDSByteSize: 0 bytes/workgroup (compile time only)
; SGPRBlocks: 5
; VGPRBlocks: 30
; NumSGPRsForWavesPerEU: 42
; NumVGPRsForWavesPerEU: 124
; Occupancy: 2
; WaveLimiterHint : 1
; COMPUTE_PGM_RSRC2:SCRATCH_EN: 0
; COMPUTE_PGM_RSRC2:USER_SGPR: 6
; COMPUTE_PGM_RSRC2:TRAP_HANDLER: 0
; COMPUTE_PGM_RSRC2:TGID_X_EN: 1
; COMPUTE_PGM_RSRC2:TGID_Y_EN: 0
; COMPUTE_PGM_RSRC2:TGID_Z_EN: 0
; COMPUTE_PGM_RSRC2:TIDIG_COMP_CNT: 0
	.type	__hip_cuid_c724bb95d6aa530,@object ; @__hip_cuid_c724bb95d6aa530
	.section	.bss,"aw",@nobits
	.globl	__hip_cuid_c724bb95d6aa530
__hip_cuid_c724bb95d6aa530:
	.byte	0                               ; 0x0
	.size	__hip_cuid_c724bb95d6aa530, 1

	.ident	"AMD clang version 19.0.0git (https://github.com/RadeonOpenCompute/llvm-project roc-6.4.0 25133 c7fe45cf4b819c5991fe208aaa96edf142730f1d)"
	.section	".note.GNU-stack","",@progbits
	.addrsig
	.addrsig_sym __hip_cuid_c724bb95d6aa530
	.amdgpu_metadata
---
amdhsa.kernels:
  - .args:
      - .actual_access:  read_only
        .address_space:  global
        .offset:         0
        .size:           8
        .value_kind:     global_buffer
      - .address_space:  global
        .offset:         8
        .size:           8
        .value_kind:     global_buffer
      - .actual_access:  read_only
        .address_space:  global
        .offset:         16
        .size:           8
        .value_kind:     global_buffer
      - .actual_access:  read_only
        .address_space:  global
        .offset:         24
        .size:           8
        .value_kind:     global_buffer
      - .actual_access:  read_only
        .address_space:  global
        .offset:         32
        .size:           8
        .value_kind:     global_buffer
      - .offset:         40
        .size:           8
        .value_kind:     by_value
      - .actual_access:  read_only
        .address_space:  global
        .offset:         48
        .size:           8
        .value_kind:     global_buffer
      - .actual_access:  read_only
        .address_space:  global
        .offset:         56
        .size:           8
        .value_kind:     global_buffer
      - .offset:         64
        .size:           4
        .value_kind:     by_value
      - .actual_access:  read_only
        .address_space:  global
        .offset:         72
        .size:           8
        .value_kind:     global_buffer
      - .actual_access:  read_only
        .address_space:  global
        .offset:         80
        .size:           8
        .value_kind:     global_buffer
      - .actual_access:  read_only
        .address_space:  global
        .offset:         88
        .size:           8
        .value_kind:     global_buffer
      - .actual_access:  write_only
        .address_space:  global
        .offset:         96
        .size:           8
        .value_kind:     global_buffer
    .group_segment_fixed_size: 0
    .kernarg_segment_align: 8
    .kernarg_segment_size: 104
    .language:       OpenCL C
    .language_version:
      - 2
      - 0
    .max_flat_workgroup_size: 120
    .name:           fft_rtc_fwd_len100_factors_10_2_5_wgs_120_tpt_10_halfLds_dim3_dp_op_CI_CI_sbcc_twdbase5_3step_dirReg
    .private_segment_fixed_size: 0
    .sgpr_count:     42
    .sgpr_spill_count: 0
    .symbol:         fft_rtc_fwd_len100_factors_10_2_5_wgs_120_tpt_10_halfLds_dim3_dp_op_CI_CI_sbcc_twdbase5_3step_dirReg.kd
    .uniform_work_group_size: 1
    .uses_dynamic_stack: false
    .vgpr_count:     124
    .vgpr_spill_count: 0
    .wavefront_size: 64
amdhsa.target:   amdgcn-amd-amdhsa--gfx906
amdhsa.version:
  - 1
  - 2
...

	.end_amdgpu_metadata
